;; amdgpu-corpus repo=ROCm/rocFFT kind=compiled arch=gfx1030 opt=O3
	.text
	.amdgcn_target "amdgcn-amd-amdhsa--gfx1030"
	.amdhsa_code_object_version 6
	.protected	fft_rtc_fwd_len384_factors_6_4_4_4_wgs_128_tpt_32_halfLds_half_ip_CI_sbrr_dirReg ; -- Begin function fft_rtc_fwd_len384_factors_6_4_4_4_wgs_128_tpt_32_halfLds_half_ip_CI_sbrr_dirReg
	.globl	fft_rtc_fwd_len384_factors_6_4_4_4_wgs_128_tpt_32_halfLds_half_ip_CI_sbrr_dirReg
	.p2align	8
	.type	fft_rtc_fwd_len384_factors_6_4_4_4_wgs_128_tpt_32_halfLds_half_ip_CI_sbrr_dirReg,@function
fft_rtc_fwd_len384_factors_6_4_4_4_wgs_128_tpt_32_halfLds_half_ip_CI_sbrr_dirReg: ; @fft_rtc_fwd_len384_factors_6_4_4_4_wgs_128_tpt_32_halfLds_half_ip_CI_sbrr_dirReg
; %bb.0:
	s_clause 0x2
	s_load_dwordx2 s[14:15], s[4:5], 0x18
	s_load_dwordx4 s[8:11], s[4:5], 0x0
	s_load_dwordx2 s[12:13], s[4:5], 0x50
	v_lshrrev_b32_e32 v18, 5, v0
	v_mov_b32_e32 v3, 0
	v_mov_b32_e32 v1, 0
	;; [unrolled: 1-line block ×3, first 2 shown]
	v_lshl_or_b32 v5, s6, 2, v18
	v_mov_b32_e32 v6, v3
	s_waitcnt lgkmcnt(0)
	s_load_dwordx2 s[2:3], s[14:15], 0x0
	v_cmp_lt_u64_e64 s0, s[10:11], 2
	s_and_b32 vcc_lo, exec_lo, s0
	s_cbranch_vccnz .LBB0_8
; %bb.1:
	s_load_dwordx2 s[0:1], s[4:5], 0x10
	v_mov_b32_e32 v1, 0
	s_add_u32 s6, s14, 8
	v_mov_b32_e32 v2, 0
	s_addc_u32 s7, s15, 0
	s_mov_b64 s[18:19], 1
	s_waitcnt lgkmcnt(0)
	s_add_u32 s16, s0, 8
	s_addc_u32 s17, s1, 0
.LBB0_2:                                ; =>This Inner Loop Header: Depth=1
	s_load_dwordx2 s[20:21], s[16:17], 0x0
                                        ; implicit-def: $vgpr7_vgpr8
	s_mov_b32 s0, exec_lo
	s_waitcnt lgkmcnt(0)
	v_or_b32_e32 v4, s21, v6
	v_cmpx_ne_u64_e32 0, v[3:4]
	s_xor_b32 s1, exec_lo, s0
	s_cbranch_execz .LBB0_4
; %bb.3:                                ;   in Loop: Header=BB0_2 Depth=1
	v_cvt_f32_u32_e32 v4, s20
	v_cvt_f32_u32_e32 v7, s21
	s_sub_u32 s0, 0, s20
	s_subb_u32 s22, 0, s21
	v_fmac_f32_e32 v4, 0x4f800000, v7
	v_rcp_f32_e32 v4, v4
	v_mul_f32_e32 v4, 0x5f7ffffc, v4
	v_mul_f32_e32 v7, 0x2f800000, v4
	v_trunc_f32_e32 v7, v7
	v_fmac_f32_e32 v4, 0xcf800000, v7
	v_cvt_u32_f32_e32 v7, v7
	v_cvt_u32_f32_e32 v4, v4
	v_mul_lo_u32 v8, s0, v7
	v_mul_hi_u32 v9, s0, v4
	v_mul_lo_u32 v10, s22, v4
	v_add_nc_u32_e32 v8, v9, v8
	v_mul_lo_u32 v9, s0, v4
	v_add_nc_u32_e32 v8, v8, v10
	v_mul_hi_u32 v10, v4, v9
	v_mul_lo_u32 v11, v4, v8
	v_mul_hi_u32 v12, v4, v8
	v_mul_hi_u32 v13, v7, v9
	v_mul_lo_u32 v9, v7, v9
	v_mul_hi_u32 v14, v7, v8
	v_mul_lo_u32 v8, v7, v8
	v_add_co_u32 v10, vcc_lo, v10, v11
	v_add_co_ci_u32_e32 v11, vcc_lo, 0, v12, vcc_lo
	v_add_co_u32 v9, vcc_lo, v10, v9
	v_add_co_ci_u32_e32 v9, vcc_lo, v11, v13, vcc_lo
	v_add_co_ci_u32_e32 v10, vcc_lo, 0, v14, vcc_lo
	v_add_co_u32 v8, vcc_lo, v9, v8
	v_add_co_ci_u32_e32 v9, vcc_lo, 0, v10, vcc_lo
	v_add_co_u32 v4, vcc_lo, v4, v8
	v_add_co_ci_u32_e32 v7, vcc_lo, v7, v9, vcc_lo
	v_mul_hi_u32 v8, s0, v4
	v_mul_lo_u32 v10, s22, v4
	v_mul_lo_u32 v9, s0, v7
	v_add_nc_u32_e32 v8, v8, v9
	v_mul_lo_u32 v9, s0, v4
	v_add_nc_u32_e32 v8, v8, v10
	v_mul_hi_u32 v10, v4, v9
	v_mul_lo_u32 v11, v4, v8
	v_mul_hi_u32 v12, v4, v8
	v_mul_hi_u32 v13, v7, v9
	v_mul_lo_u32 v9, v7, v9
	v_mul_hi_u32 v14, v7, v8
	v_mul_lo_u32 v8, v7, v8
	v_add_co_u32 v10, vcc_lo, v10, v11
	v_add_co_ci_u32_e32 v11, vcc_lo, 0, v12, vcc_lo
	v_add_co_u32 v9, vcc_lo, v10, v9
	v_add_co_ci_u32_e32 v9, vcc_lo, v11, v13, vcc_lo
	v_add_co_ci_u32_e32 v10, vcc_lo, 0, v14, vcc_lo
	v_add_co_u32 v8, vcc_lo, v9, v8
	v_add_co_ci_u32_e32 v9, vcc_lo, 0, v10, vcc_lo
	v_add_co_u32 v4, vcc_lo, v4, v8
	v_add_co_ci_u32_e32 v11, vcc_lo, v7, v9, vcc_lo
	v_mul_hi_u32 v13, v5, v4
	v_mad_u64_u32 v[9:10], null, v6, v4, 0
	v_mad_u64_u32 v[7:8], null, v5, v11, 0
	;; [unrolled: 1-line block ×3, first 2 shown]
	v_add_co_u32 v4, vcc_lo, v13, v7
	v_add_co_ci_u32_e32 v7, vcc_lo, 0, v8, vcc_lo
	v_add_co_u32 v4, vcc_lo, v4, v9
	v_add_co_ci_u32_e32 v4, vcc_lo, v7, v10, vcc_lo
	v_add_co_ci_u32_e32 v7, vcc_lo, 0, v12, vcc_lo
	v_add_co_u32 v4, vcc_lo, v4, v11
	v_add_co_ci_u32_e32 v9, vcc_lo, 0, v7, vcc_lo
	v_mul_lo_u32 v10, s21, v4
	v_mad_u64_u32 v[7:8], null, s20, v4, 0
	v_mul_lo_u32 v11, s20, v9
	v_sub_co_u32 v7, vcc_lo, v5, v7
	v_add3_u32 v8, v8, v11, v10
	v_sub_nc_u32_e32 v10, v6, v8
	v_subrev_co_ci_u32_e64 v10, s0, s21, v10, vcc_lo
	v_add_co_u32 v11, s0, v4, 2
	v_add_co_ci_u32_e64 v12, s0, 0, v9, s0
	v_sub_co_u32 v13, s0, v7, s20
	v_sub_co_ci_u32_e32 v8, vcc_lo, v6, v8, vcc_lo
	v_subrev_co_ci_u32_e64 v10, s0, 0, v10, s0
	v_cmp_le_u32_e32 vcc_lo, s20, v13
	v_cmp_eq_u32_e64 s0, s21, v8
	v_cndmask_b32_e64 v13, 0, -1, vcc_lo
	v_cmp_le_u32_e32 vcc_lo, s21, v10
	v_cndmask_b32_e64 v14, 0, -1, vcc_lo
	v_cmp_le_u32_e32 vcc_lo, s20, v7
	;; [unrolled: 2-line block ×3, first 2 shown]
	v_cndmask_b32_e64 v15, 0, -1, vcc_lo
	v_cmp_eq_u32_e32 vcc_lo, s21, v10
	v_cndmask_b32_e64 v7, v15, v7, s0
	v_cndmask_b32_e32 v10, v14, v13, vcc_lo
	v_add_co_u32 v13, vcc_lo, v4, 1
	v_add_co_ci_u32_e32 v14, vcc_lo, 0, v9, vcc_lo
	v_cmp_ne_u32_e32 vcc_lo, 0, v10
	v_cndmask_b32_e32 v8, v14, v12, vcc_lo
	v_cndmask_b32_e32 v10, v13, v11, vcc_lo
	v_cmp_ne_u32_e32 vcc_lo, 0, v7
	v_cndmask_b32_e32 v8, v9, v8, vcc_lo
	v_cndmask_b32_e32 v7, v4, v10, vcc_lo
.LBB0_4:                                ;   in Loop: Header=BB0_2 Depth=1
	s_andn2_saveexec_b32 s0, s1
	s_cbranch_execz .LBB0_6
; %bb.5:                                ;   in Loop: Header=BB0_2 Depth=1
	v_cvt_f32_u32_e32 v4, s20
	s_sub_i32 s1, 0, s20
	v_rcp_iflag_f32_e32 v4, v4
	v_mul_f32_e32 v4, 0x4f7ffffe, v4
	v_cvt_u32_f32_e32 v4, v4
	v_mul_lo_u32 v7, s1, v4
	v_mul_hi_u32 v7, v4, v7
	v_add_nc_u32_e32 v4, v4, v7
	v_mul_hi_u32 v4, v5, v4
	v_mul_lo_u32 v7, v4, s20
	v_add_nc_u32_e32 v8, 1, v4
	v_sub_nc_u32_e32 v7, v5, v7
	v_subrev_nc_u32_e32 v9, s20, v7
	v_cmp_le_u32_e32 vcc_lo, s20, v7
	v_cndmask_b32_e32 v7, v7, v9, vcc_lo
	v_cndmask_b32_e32 v4, v4, v8, vcc_lo
	v_cmp_le_u32_e32 vcc_lo, s20, v7
	v_add_nc_u32_e32 v8, 1, v4
	v_cndmask_b32_e32 v7, v4, v8, vcc_lo
	v_mov_b32_e32 v8, v3
.LBB0_6:                                ;   in Loop: Header=BB0_2 Depth=1
	s_or_b32 exec_lo, exec_lo, s0
	s_load_dwordx2 s[0:1], s[6:7], 0x0
	v_mul_lo_u32 v4, v8, s20
	v_mul_lo_u32 v11, v7, s21
	v_mad_u64_u32 v[9:10], null, v7, s20, 0
	s_add_u32 s18, s18, 1
	s_addc_u32 s19, s19, 0
	s_add_u32 s6, s6, 8
	s_addc_u32 s7, s7, 0
	;; [unrolled: 2-line block ×3, first 2 shown]
	v_add3_u32 v4, v10, v11, v4
	v_sub_co_u32 v5, vcc_lo, v5, v9
	v_sub_co_ci_u32_e32 v4, vcc_lo, v6, v4, vcc_lo
	s_waitcnt lgkmcnt(0)
	v_mul_lo_u32 v6, s1, v5
	v_mul_lo_u32 v4, s0, v4
	v_mad_u64_u32 v[1:2], null, s0, v5, v[1:2]
	v_cmp_ge_u64_e64 s0, s[18:19], s[10:11]
	s_and_b32 vcc_lo, exec_lo, s0
	v_add3_u32 v2, v6, v2, v4
	s_cbranch_vccnz .LBB0_9
; %bb.7:                                ;   in Loop: Header=BB0_2 Depth=1
	v_mov_b32_e32 v5, v7
	v_mov_b32_e32 v6, v8
	s_branch .LBB0_2
.LBB0_8:
	v_mov_b32_e32 v8, v6
	v_mov_b32_e32 v7, v5
.LBB0_9:
	s_lshl_b64 s[0:1], s[10:11], 3
	v_and_b32_e32 v6, 31, v0
	s_add_u32 s0, s14, s0
	s_addc_u32 s1, s15, s1
                                        ; implicit-def: $vgpr17
                                        ; implicit-def: $vgpr16
	s_load_dwordx2 s[0:1], s[0:1], 0x0
	s_load_dwordx2 s[4:5], s[4:5], 0x20
	v_or_b32_e32 v4, 32, v6
	s_waitcnt lgkmcnt(0)
	v_mul_lo_u32 v3, s0, v8
	v_mul_lo_u32 v5, s1, v7
	v_mad_u64_u32 v[1:2], null, s0, v7, v[1:2]
	v_cmp_gt_u64_e32 vcc_lo, s[4:5], v[7:8]
	v_cmp_le_u64_e64 s0, s[4:5], v[7:8]
	v_add3_u32 v2, v5, v2, v3
	v_or_b32_e32 v5, 64, v6
	s_and_saveexec_b32 s1, s0
	s_xor_b32 s0, exec_lo, s1
; %bb.10:
	v_or_b32_e32 v17, 32, v6
	v_or_b32_e32 v16, 64, v6
; %bb.11:
	s_or_saveexec_b32 s1, s0
	v_lshlrev_b64 v[0:1], 2, v[1:2]
	v_or_b32_e32 v8, 0x80, v6
	v_or_b32_e32 v12, 0xc0, v6
	;; [unrolled: 1-line block ×9, first 2 shown]
                                        ; implicit-def: $vgpr28
                                        ; implicit-def: $vgpr26
                                        ; implicit-def: $vgpr32
                                        ; implicit-def: $vgpr29
                                        ; implicit-def: $vgpr40
                                        ; implicit-def: $vgpr37
                                        ; implicit-def: $vgpr36
                                        ; implicit-def: $vgpr33
                                        ; implicit-def: $vgpr39
                                        ; implicit-def: $vgpr38
                                        ; implicit-def: $vgpr35
                                        ; implicit-def: $vgpr34
                                        ; implicit-def: $vgpr2
                                        ; implicit-def: $vgpr3
                                        ; implicit-def: $vgpr20
                                        ; implicit-def: $vgpr19
                                        ; implicit-def: $vgpr31
                                        ; implicit-def: $vgpr25
                                        ; implicit-def: $vgpr24
                                        ; implicit-def: $vgpr21
                                        ; implicit-def: $vgpr30
                                        ; implicit-def: $vgpr27
                                        ; implicit-def: $vgpr23
                                        ; implicit-def: $vgpr22
	s_xor_b32 exec_lo, exec_lo, s1
	s_cbranch_execz .LBB0_13
; %bb.12:
	v_mad_u64_u32 v[2:3], null, s2, v6, 0
	v_mad_u64_u32 v[16:17], null, s2, v5, 0
	;; [unrolled: 1-line block ×3, first 2 shown]
	v_add_co_u32 v38, s0, s12, v0
	v_mad_u64_u32 v[21:22], null, s3, v6, v[3:4]
	v_mad_u64_u32 v[22:23], null, s2, v12, 0
	;; [unrolled: 1-line block ×4, first 2 shown]
	v_mov_b32_e32 v3, v21
	v_add_co_ci_u32_e64 v48, s0, s13, v1, s0
	v_mov_b32_e32 v21, v23
	v_mov_b32_e32 v17, v24
	v_lshlrev_b64 v[2:3], 2, v[2:3]
	v_mad_u64_u32 v[32:33], null, s2, v14, 0
	v_mad_u64_u32 v[23:24], null, s3, v8, v[20:21]
	;; [unrolled: 1-line block ×3, first 2 shown]
	v_mov_b32_e32 v21, v26
	v_lshlrev_b64 v[16:17], 2, v[16:17]
	v_add_co_u32 v2, s0, v38, v2
	v_mov_b32_e32 v20, v23
	v_mad_u64_u32 v[29:30], null, s3, v7, v[21:22]
	v_mov_b32_e32 v23, v27
	v_mad_u64_u32 v[27:28], null, s2, v9, 0
	v_mad_u64_u32 v[30:31], null, s2, v4, 0
	v_lshlrev_b64 v[21:22], 2, v[22:23]
	v_mov_b32_e32 v26, v29
	v_lshlrev_b64 v[19:20], 2, v[19:20]
	v_add_co_ci_u32_e64 v3, s0, v48, v3, s0
	v_mov_b32_e32 v23, v28
	v_add_co_u32 v16, s0, v38, v16
	v_lshlrev_b64 v[25:26], 2, v[25:26]
	v_add_co_ci_u32_e64 v17, s0, v48, v17, s0
	v_mad_u64_u32 v[23:24], null, s3, v9, v[23:24]
	v_mov_b32_e32 v24, v31
	v_add_co_u32 v19, s0, v38, v19
	v_add_co_ci_u32_e64 v20, s0, v48, v20, s0
	v_add_co_u32 v21, s0, v38, v21
	v_mad_u64_u32 v[34:35], null, s3, v4, v[24:25]
	v_mov_b32_e32 v28, v23
	v_add_co_ci_u32_e64 v22, s0, v48, v22, s0
	v_add_co_u32 v23, s0, v38, v25
	v_add_co_ci_u32_e64 v24, s0, v48, v26, s0
	v_lshlrev_b64 v[25:26], 2, v[27:28]
	v_mad_u64_u32 v[28:29], null, s2, v10, 0
	v_mov_b32_e32 v27, v33
	v_mov_b32_e32 v31, v34
	v_mad_u64_u32 v[36:37], null, s2, v15, 0
	v_add_co_u32 v39, s0, v38, v25
	v_mad_u64_u32 v[33:34], null, s3, v14, v[27:28]
	v_add_co_ci_u32_e64 v40, s0, v48, v26, s0
	v_lshlrev_b64 v[26:27], 2, v[30:31]
	v_mad_u64_u32 v[34:35], null, s2, v13, 0
	v_mov_b32_e32 v25, v29
	v_add_co_u32 v44, s0, v38, v26
	v_mad_u64_u32 v[30:31], null, s3, v10, v[25:26]
	v_mov_b32_e32 v29, v35
	v_add_co_ci_u32_e64 v45, s0, v48, v27, s0
	v_lshlrev_b64 v[26:27], 2, v[32:33]
	v_mov_b32_e32 v25, v37
	v_mad_u64_u32 v[41:42], null, s3, v13, v[29:30]
	v_mad_u64_u32 v[42:43], null, s2, v11, 0
	v_mov_b32_e32 v29, v30
	v_mad_u64_u32 v[30:31], null, s3, v15, v[25:26]
	v_add_co_u32 v31, s0, v38, v26
	v_add_co_ci_u32_e64 v32, s0, v48, v27, s0
	v_lshlrev_b64 v[26:27], 2, v[28:29]
	v_mov_b32_e32 v25, v43
	v_mov_b32_e32 v35, v41
	;; [unrolled: 1-line block ×3, first 2 shown]
	v_mad_u64_u32 v[28:29], null, s3, v11, v[25:26]
	v_lshlrev_b64 v[33:34], 2, v[34:35]
	v_add_co_u32 v46, s0, v38, v26
	v_lshlrev_b64 v[25:26], 2, v[36:37]
	v_add_co_ci_u32_e64 v47, s0, v48, v27, s0
	v_mov_b32_e32 v43, v28
	v_add_co_u32 v27, s0, v38, v33
	v_add_co_ci_u32_e64 v28, s0, v48, v34, s0
	v_lshlrev_b64 v[29:30], 2, v[42:43]
	v_add_co_u32 v35, s0, v38, v25
	v_add_co_ci_u32_e64 v36, s0, v48, v26, s0
	v_add_co_u32 v41, s0, v38, v29
	v_add_co_ci_u32_e64 v42, s0, v48, v30, s0
	s_clause 0xb
	global_load_dword v26, v[2:3], off
	global_load_dword v29, v[16:17], off
	;; [unrolled: 1-line block ×12, first 2 shown]
	v_mov_b32_e32 v16, v5
	v_mov_b32_e32 v17, v4
	s_waitcnt vmcnt(11)
	v_lshrrev_b32_e32 v28, 16, v26
	s_waitcnt vmcnt(10)
	v_lshrrev_b32_e32 v32, 16, v29
	;; [unrolled: 2-line block ×12, first 2 shown]
.LBB0_13:
	s_or_b32 exec_lo, exec_lo, s1
	v_add_f16_e32 v41, v37, v38
	v_add_f16_e32 v42, v26, v37
	v_sub_f16_e32 v43, v40, v39
	v_add_f16_e32 v44, v40, v39
	v_sub_f16_e32 v37, v37, v38
	v_fmac_f16_e32 v26, -0.5, v41
	v_add_f16_e32 v38, v42, v38
	v_add_f16_e32 v42, v33, v34
	;; [unrolled: 1-line block ×3, first 2 shown]
	v_fmac_f16_e32 v28, -0.5, v44
	v_fmamk_f16 v41, v43, 0x3aee, v26
	v_fmac_f16_e32 v26, 0xbaee, v43
	v_add_f16_e32 v43, v36, v35
	v_add_f16_e32 v44, v29, v33
	v_fmac_f16_e32 v29, -0.5, v42
	v_sub_f16_e32 v42, v36, v35
	v_add_f16_e32 v36, v32, v36
	v_fmac_f16_e32 v32, -0.5, v43
	v_sub_f16_e32 v33, v33, v34
	v_add_f16_e32 v39, v40, v39
	v_fmamk_f16 v40, v37, 0xbaee, v28
	v_fmac_f16_e32 v28, 0x3aee, v37
	v_fmamk_f16 v37, v42, 0x3aee, v29
	v_fmac_f16_e32 v29, 0xbaee, v42
	;; [unrolled: 2-line block ×3, first 2 shown]
	v_add_f16_e32 v35, v36, v35
	v_mul_f16_e32 v33, 0.5, v37
	v_mul_f16_e32 v36, 0xbaee, v37
	v_add_f16_e32 v34, v44, v34
	v_mul_f16_e32 v37, -0.5, v32
	v_mul_f16_e32 v43, -0.5, v29
	v_add_f16_e32 v44, v39, v35
	v_fmac_f16_e32 v36, 0.5, v42
	v_sub_f16_e32 v35, v39, v35
	v_fmac_f16_e32 v37, 0xbaee, v29
	v_fmac_f16_e32 v43, 0x3aee, v32
	v_add_f16_e32 v32, v38, v34
	v_sub_f16_e32 v34, v38, v34
	v_add_f16_e32 v38, v25, v27
	v_add_f16_e32 v46, v28, v37
	v_sub_f16_e32 v37, v28, v37
	v_add_f16_e32 v28, v31, v30
	v_add_f16_e32 v39, v3, v25
	v_fmac_f16_e32 v3, -0.5, v38
	v_sub_f16_e32 v38, v31, v30
	v_add_f16_e32 v31, v2, v31
	v_fmac_f16_e32 v2, -0.5, v28
	v_add_f16_e32 v28, v21, v22
	v_add_f16_e32 v45, v40, v36
	v_sub_f16_e32 v36, v40, v36
	v_add_f16_e32 v39, v39, v27
	v_sub_f16_e32 v25, v25, v27
	v_fmamk_f16 v27, v38, 0x3aee, v3
	v_fmac_f16_e32 v3, 0xbaee, v38
	v_add_f16_e32 v38, v24, v23
	v_add_f16_e32 v40, v19, v21
	v_fmac_f16_e32 v19, -0.5, v28
	v_sub_f16_e32 v28, v24, v23
	v_add_f16_e32 v30, v31, v30
	v_fmamk_f16 v31, v25, 0xbaee, v2
	v_add_f16_e32 v24, v20, v24
	v_fmac_f16_e32 v20, -0.5, v38
	v_sub_f16_e32 v21, v21, v22
	v_fmac_f16_e32 v2, 0x3aee, v25
	v_fmamk_f16 v25, v28, 0x3aee, v19
	v_fmac_f16_e32 v19, 0xbaee, v28
	v_mul_u32_u24_e32 v18, 0x180, v18
	v_fmamk_f16 v28, v21, 0xbaee, v20
	v_fmac_f16_e32 v20, 0x3aee, v21
	v_mul_f16_e32 v21, 0.5, v25
	v_mul_f16_e32 v38, -0.5, v19
	v_fmac_f16_e32 v33, 0x3aee, v42
	v_add_f16_e32 v22, v40, v22
	v_add_f16_e32 v23, v24, v23
	v_mul_f16_e32 v24, 0xbaee, v25
	v_mul_f16_e32 v25, -0.5, v20
	v_fmac_f16_e32 v21, 0x3aee, v28
	v_fmac_f16_e32 v38, 0x3aee, v20
	v_add_f16_e32 v29, v41, v33
	v_add_f16_e32 v42, v26, v43
	v_add_f16_e32 v20, v39, v22
	v_fmac_f16_e32 v24, 0.5, v28
	v_fmac_f16_e32 v25, 0xbaee, v19
	v_add_f16_e32 v19, v27, v21
	v_sub_f16_e32 v39, v39, v22
	v_sub_f16_e32 v21, v27, v21
	v_mul_u32_u24_e32 v27, 6, v6
	v_lshl_add_u32 v22, v18, 1, 0
	v_sub_f16_e32 v33, v41, v33
	v_sub_f16_e32 v26, v26, v43
	v_add_f16_e32 v28, v3, v38
	v_mul_i32_i24_e32 v18, 6, v17
	v_sub_f16_e32 v3, v3, v38
	v_add_f16_e32 v40, v30, v23
	v_add_f16_e32 v41, v31, v24
	v_sub_f16_e32 v38, v30, v23
	v_sub_f16_e32 v47, v31, v24
	v_lshl_add_u32 v48, v27, 1, v22
	v_pack_b32_f16 v23, v42, v34
	v_pack_b32_f16 v24, v32, v29
	;; [unrolled: 1-line block ×3, first 2 shown]
	v_lshl_add_u32 v42, v18, 1, v22
	v_pack_b32_f16 v18, v28, v39
	v_pack_b32_f16 v19, v20, v19
	;; [unrolled: 1-line block ×3, first 2 shown]
	ds_write2_b32 v48, v24, v23 offset1:1
	ds_write_b32 v48, v26 offset:8
	ds_write2_b32 v42, v19, v18 offset1:1
	ds_write_b32 v42, v3 offset:8
	v_mul_lo_u16 v3, v6, 43
	v_lshl_add_u32 v18, v6, 1, v22
	v_lshl_add_u32 v21, v16, 1, v22
	v_and_b32_e32 v39, 0xff, v17
	v_mad_i32_i24 v19, v6, -10, v48
	v_lshrrev_b16 v49, 8, v3
	v_pack_b32_f16 v3, v46, v35
	v_pack_b32_f16 v35, v44, v45
	v_mad_i32_i24 v20, v17, -10, v42
	v_add_f16_e32 v43, v2, v25
	v_sub_f16_e32 v2, v2, v25
	s_waitcnt lgkmcnt(0)
	s_barrier
	buffer_gl0_inv
	ds_read_u16 v23, v18
	ds_read_u16 v28, v19 offset:192
	ds_read_u16 v26, v19 offset:256
	;; [unrolled: 1-line block ×8, first 2 shown]
	ds_read_u16 v30, v21
	ds_read_u16 v33, v20
	ds_read_u16 v34, v19 offset:704
	s_waitcnt lgkmcnt(0)
	s_barrier
	v_mul_lo_u16 v45, 0xab, v39
	buffer_gl0_inv
	ds_write2_b32 v48, v35, v3 offset1:1
	v_and_b32_e32 v3, 0xff, v16
	v_pack_b32_f16 v36, v36, v37
	v_mul_lo_u16 v37, v49, 6
	v_lshrrev_b16 v46, 10, v45
	v_pack_b32_f16 v35, v43, v38
	v_mul_lo_u16 v50, 0xab, v3
	ds_write_b32 v48, v36 offset:8
	v_sub_nc_u16 v48, v6, v37
	v_pack_b32_f16 v3, v40, v41
	v_pack_b32_f16 v2, v47, v2
	v_mul_lo_u16 v36, v46, 6
	v_lshrrev_b16 v47, 10, v50
	v_mul_lo_u16 v37, v48, 3
	v_mov_b32_e32 v38, 2
	ds_write2_b32 v42, v3, v35 offset1:1
	v_sub_nc_u16 v51, v17, v36
	v_mov_b32_e32 v35, 3
	v_mul_lo_u16 v3, v47, 6
	ds_write_b32 v42, v2 offset:8
	v_lshlrev_b32_sdwa v2, v38, v37 dst_sel:DWORD dst_unused:UNUSED_PAD src0_sel:DWORD src1_sel:BYTE_0
	s_waitcnt lgkmcnt(0)
	v_mul_u32_u24_sdwa v39, v51, v35 dst_sel:DWORD dst_unused:UNUSED_PAD src0_sel:BYTE_0 src1_sel:DWORD
	v_sub_nc_u16 v52, v16, v3
	s_barrier
	buffer_gl0_inv
	global_load_dwordx3 v[36:38], v2, s[8:9]
	v_lshlrev_b32_e32 v2, 2, v39
	v_mul_u32_u24_sdwa v3, v52, v35 dst_sel:DWORD dst_unused:UNUSED_PAD src0_sel:BYTE_0 src1_sel:DWORD
	v_cmp_gt_u32_e64 s0, 24, v6
	v_mov_b32_e32 v54, 24
	v_lshrrev_b16 v55, 12, v45
	global_load_dwordx3 v[39:41], v2, s[8:9]
	v_lshlrev_b32_e32 v2, 2, v3
	v_mov_b32_e32 v3, 0
	v_lshrrev_b16 v50, 12, v50
	v_mul_lo_u16 v49, v49, 24
	v_mul_u32_u24_sdwa v56, v46, v54 dst_sel:DWORD dst_unused:UNUSED_PAD src0_sel:WORD_0 src1_sel:DWORD
	global_load_dwordx3 v[42:44], v2, s[8:9]
	v_subrev_nc_u32_e32 v2, 24, v6
	v_mul_lo_u16 v57, v55, 24
	v_mul_lo_u16 v58, v50, 24
	ds_read_u16 v59, v19 offset:448
	v_or_b32_sdwa v51, v56, v51 dst_sel:DWORD dst_unused:UNUSED_PAD src0_sel:DWORD src1_sel:BYTE_0
	v_cndmask_b32_e64 v53, v2, v6, s0
	v_lshl_add_u32 v51, v51, 1, v22
	v_mul_i32_i24_e32 v2, 3, v53
	v_lshlrev_b64 v[45:46], 2, v[2:3]
	v_mul_u32_u24_sdwa v2, v47, v54 dst_sel:DWORD dst_unused:UNUSED_PAD src0_sel:WORD_0 src1_sel:DWORD
	v_or_b32_e32 v47, v49, v48
	v_sub_nc_u16 v48, v17, v57
	ds_read_u16 v54, v19 offset:192
	ds_read_u16 v57, v19 offset:576
	v_or_b32_sdwa v2, v2, v52 dst_sel:DWORD dst_unused:UNUSED_PAD src0_sel:DWORD src1_sel:BYTE_0
	ds_read_u16 v52, v19 offset:384
	v_sub_nc_u16 v49, v16, v58
	ds_read_u16 v58, v19 offset:256
	ds_read_u16 v60, v19 offset:640
	;; [unrolled: 1-line block ×4, first 2 shown]
	ds_read_u16 v63, v18
	ds_read_u16 v64, v19 offset:704
	ds_read_u16 v65, v21
	ds_read_u16 v66, v20
	v_and_b32_e32 v47, 0xff, v47
	v_mul_u32_u24_sdwa v56, v48, v35 dst_sel:DWORD dst_unused:UNUSED_PAD src0_sel:BYTE_0 src1_sel:DWORD
	s_waitcnt vmcnt(0) lgkmcnt(0)
	s_barrier
	buffer_gl0_inv
	v_lshl_add_u32 v47, v47, 1, v22
	v_lshl_add_u32 v2, v2, 1, v22
	v_add_co_u32 v45, s0, s8, v45
	v_add_co_ci_u32_e64 v46, s0, s9, v46, s0
	v_cmp_lt_u32_e64 s0, 23, v6
	v_mul_f16_sdwa v68, v28, v36 dst_sel:DWORD dst_unused:UNUSED_PAD src0_sel:DWORD src1_sel:WORD_1
	v_mul_f16_sdwa v70, v32, v37 dst_sel:DWORD dst_unused:UNUSED_PAD src0_sel:DWORD src1_sel:WORD_1
	v_mul_f16_sdwa v72, v31, v38 dst_sel:DWORD dst_unused:UNUSED_PAD src0_sel:DWORD src1_sel:WORD_1
	v_mul_f16_sdwa v67, v54, v36 dst_sel:DWORD dst_unused:UNUSED_PAD src0_sel:DWORD src1_sel:WORD_1
	v_mul_f16_sdwa v69, v52, v37 dst_sel:DWORD dst_unused:UNUSED_PAD src0_sel:DWORD src1_sel:WORD_1
	v_mul_f16_sdwa v71, v57, v38 dst_sel:DWORD dst_unused:UNUSED_PAD src0_sel:DWORD src1_sel:WORD_1
	v_mul_f16_sdwa v73, v58, v39 dst_sel:DWORD dst_unused:UNUSED_PAD src0_sel:DWORD src1_sel:WORD_1
	v_mul_f16_sdwa v75, v59, v40 dst_sel:DWORD dst_unused:UNUSED_PAD src0_sel:DWORD src1_sel:WORD_1
	v_mul_f16_sdwa v77, v60, v41 dst_sel:DWORD dst_unused:UNUSED_PAD src0_sel:DWORD src1_sel:WORD_1
	v_mul_f16_sdwa v74, v26, v39 dst_sel:DWORD dst_unused:UNUSED_PAD src0_sel:DWORD src1_sel:WORD_1
	v_mul_f16_sdwa v76, v29, v40 dst_sel:DWORD dst_unused:UNUSED_PAD src0_sel:DWORD src1_sel:WORD_1
	v_mul_f16_sdwa v78, v24, v41 dst_sel:DWORD dst_unused:UNUSED_PAD src0_sel:DWORD src1_sel:WORD_1
	v_mul_f16_sdwa v79, v62, v42 dst_sel:DWORD dst_unused:UNUSED_PAD src0_sel:DWORD src1_sel:WORD_1
	v_mul_f16_sdwa v80, v27, v42 dst_sel:DWORD dst_unused:UNUSED_PAD src0_sel:DWORD src1_sel:WORD_1
	v_mul_f16_sdwa v81, v61, v43 dst_sel:DWORD dst_unused:UNUSED_PAD src0_sel:DWORD src1_sel:WORD_1
	v_mul_f16_sdwa v82, v25, v43 dst_sel:DWORD dst_unused:UNUSED_PAD src0_sel:DWORD src1_sel:WORD_1
	v_mul_f16_sdwa v83, v64, v44 dst_sel:DWORD dst_unused:UNUSED_PAD src0_sel:DWORD src1_sel:WORD_1
	v_mul_f16_sdwa v84, v34, v44 dst_sel:DWORD dst_unused:UNUSED_PAD src0_sel:DWORD src1_sel:WORD_1
	v_fmac_f16_e32 v68, v54, v36
	v_fmac_f16_e32 v70, v52, v37
	;; [unrolled: 1-line block ×3, first 2 shown]
	v_fma_f16 v28, v28, v36, -v67
	v_fma_f16 v32, v32, v37, -v69
	v_fma_f16 v31, v31, v38, -v71
	v_fma_f16 v26, v26, v39, -v73
	v_fma_f16 v29, v29, v40, -v75
	v_fma_f16 v24, v24, v41, -v77
	v_fmac_f16_e32 v74, v58, v39
	v_fmac_f16_e32 v76, v59, v40
	;; [unrolled: 1-line block ×3, first 2 shown]
	v_fma_f16 v27, v27, v42, -v79
	v_fmac_f16_e32 v80, v62, v42
	v_fma_f16 v25, v25, v43, -v81
	v_fmac_f16_e32 v82, v61, v43
	;; [unrolled: 2-line block ×3, first 2 shown]
	v_sub_f16_e32 v36, v63, v70
	v_sub_f16_e32 v37, v68, v72
	;; [unrolled: 1-line block ×12, first 2 shown]
	v_fma_f16 v42, v63, 2.0, -v36
	v_fma_f16 v43, v68, 2.0, -v37
	;; [unrolled: 1-line block ×8, first 2 shown]
	v_sub_f16_e32 v37, v32, v37
	v_fma_f16 v30, v30, 2.0, -v25
	v_fma_f16 v54, v65, 2.0, -v40
	;; [unrolled: 1-line block ×4, first 2 shown]
	v_sub_f16_e32 v43, v42, v43
	v_add_f16_e32 v31, v36, v31
	v_sub_f16_e32 v28, v23, v28
	v_sub_f16_e32 v26, v33, v26
	;; [unrolled: 1-line block ×4, first 2 shown]
	v_add_f16_e32 v24, v38, v24
	v_sub_f16_e32 v41, v25, v41
	v_add_f16_e32 v34, v40, v34
	v_fma_f16 v32, v32, 2.0, -v37
	v_sub_f16_e32 v27, v30, v27
	v_sub_f16_e32 v57, v54, v57
	ds_write_b16 v47, v37 offset:36
	v_fma_f16 v37, v42, 2.0, -v43
	v_fma_f16 v36, v36, 2.0, -v31
	;; [unrolled: 1-line block ×11, first 2 shown]
	ds_write_b16 v47, v32 offset:12
	ds_write_b16 v47, v28 offset:24
	ds_write_b16 v47, v23
	ds_write_b16 v51, v33
	ds_write_b16 v51, v29 offset:12
	ds_write_b16 v51, v26 offset:24
	;; [unrolled: 1-line block ×3, first 2 shown]
	ds_write_b16 v2, v30
	ds_write_b16 v2, v25 offset:12
	ds_write_b16 v2, v27 offset:24
	;; [unrolled: 1-line block ×3, first 2 shown]
	s_waitcnt lgkmcnt(0)
	s_barrier
	buffer_gl0_inv
	ds_read_u16 v32, v18
	ds_read_u16 v33, v19 offset:192
	ds_read_u16 v39, v19 offset:256
	;; [unrolled: 1-line block ×8, first 2 shown]
	ds_read_u16 v62, v21
	ds_read_u16 v63, v20
	ds_read_u16 v64, v19 offset:704
	s_waitcnt lgkmcnt(0)
	s_barrier
	buffer_gl0_inv
	ds_write_b16 v47, v37
	ds_write_b16 v47, v36 offset:12
	ds_write_b16 v47, v43 offset:24
	ds_write_b16 v47, v31 offset:36
	ds_write_b16 v51, v42
	ds_write_b16 v51, v38 offset:12
	ds_write_b16 v51, v52 offset:24
	ds_write_b16 v51, v24 offset:36
	;; [unrolled: 4-line block ×3, first 2 shown]
	v_lshlrev_b32_e32 v2, 2, v56
	v_mul_u32_u24_sdwa v29, v49, v35 dst_sel:DWORD dst_unused:UNUSED_PAD src0_sel:BYTE_0 src1_sel:DWORD
	s_waitcnt lgkmcnt(0)
	s_barrier
	buffer_gl0_inv
	global_load_dwordx3 v[26:28], v2, s[8:9] offset:72
	v_lshlrev_b32_e32 v2, 2, v29
	global_load_dwordx3 v[23:25], v[45:46], off offset:72
	v_cndmask_b32_e64 v34, 0, 0x60, s0
	ds_read_u16 v36, v19 offset:192
	ds_read_u16 v37, v19 offset:384
	;; [unrolled: 1-line block ×3, first 2 shown]
	global_load_dwordx3 v[29:31], v2, s[8:9] offset:72
	v_mov_b32_e32 v2, 0x60
	v_or_b32_e32 v34, v34, v53
	ds_read_u16 v38, v19 offset:576
	ds_read_u16 v40, v19 offset:256
	v_mul_u32_u24_sdwa v35, v55, v2 dst_sel:DWORD dst_unused:UNUSED_PAD src0_sel:WORD_0 src1_sel:DWORD
	v_mul_u32_u24_sdwa v2, v50, v2 dst_sel:DWORD dst_unused:UNUSED_PAD src0_sel:WORD_0 src1_sel:DWORD
	v_lshl_add_u32 v34, v34, 1, v22
	v_or_b32_sdwa v35, v35, v48 dst_sel:DWORD dst_unused:UNUSED_PAD src0_sel:DWORD src1_sel:BYTE_0
	v_or_b32_sdwa v2, v2, v49 dst_sel:DWORD dst_unused:UNUSED_PAD src0_sel:DWORD src1_sel:BYTE_0
	v_lshl_add_u32 v35, v35, 1, v22
	v_lshl_add_u32 v2, v2, 1, v22
	ds_read_u16 v22, v19 offset:640
	ds_read_u16 v43, v19 offset:512
	;; [unrolled: 1-line block ×3, first 2 shown]
	ds_read_u16 v45, v18
	ds_read_u16 v46, v21
	;; [unrolled: 1-line block ×3, first 2 shown]
	ds_read_u16 v48, v19 offset:704
	s_waitcnt vmcnt(0) lgkmcnt(0)
	s_barrier
	buffer_gl0_inv
	v_mul_f16_sdwa v56, v40, v26 dst_sel:DWORD dst_unused:UNUSED_PAD src0_sel:DWORD src1_sel:WORD_1
	v_mul_f16_sdwa v57, v39, v26 dst_sel:DWORD dst_unused:UNUSED_PAD src0_sel:DWORD src1_sel:WORD_1
	;; [unrolled: 1-line block ×17, first 2 shown]
	v_fma_f16 v33, v33, v23, -v49
	v_fmac_f16_e32 v50, v36, v23
	v_fma_f16 v23, v60, v24, -v51
	v_fmac_f16_e32 v52, v37, v24
	;; [unrolled: 2-line block ×5, first 2 shown]
	v_fma_f16 v27, v41, v28, -v67
	v_mul_f16_sdwa v74, v64, v31 dst_sel:DWORD dst_unused:UNUSED_PAD src0_sel:DWORD src1_sel:WORD_1
	v_fmac_f16_e32 v68, v22, v28
	v_fma_f16 v22, v61, v29, -v69
	v_fmac_f16_e32 v70, v44, v29
	v_fma_f16 v28, v58, v30, -v71
	v_fma_f16 v29, v64, v31, -v73
	v_fmac_f16_e32 v72, v43, v30
	v_sub_f16_e32 v23, v32, v23
	v_sub_f16_e32 v24, v33, v24
	;; [unrolled: 1-line block ×5, first 2 shown]
	v_fmac_f16_e32 v74, v48, v31
	v_sub_f16_e32 v36, v47, v66
	v_sub_f16_e32 v28, v62, v28
	;; [unrolled: 1-line block ×5, first 2 shown]
	v_fma_f16 v32, v32, 2.0, -v23
	v_fma_f16 v33, v33, 2.0, -v24
	v_add_f16_e32 v42, v30, v24
	v_fma_f16 v24, v63, 2.0, -v26
	v_fma_f16 v25, v25, 2.0, -v27
	v_sub_f16_e32 v37, v57, v68
	v_sub_f16_e32 v39, v70, v74
	v_fma_f16 v40, v45, 2.0, -v30
	v_add_f16_e32 v45, v36, v27
	v_fma_f16 v27, v62, 2.0, -v28
	v_fma_f16 v22, v22, 2.0, -v29
	;; [unrolled: 1-line block ×3, first 2 shown]
	v_sub_f16_e32 v31, v23, v31
	v_add_f16_e32 v48, v38, v29
	v_sub_f16_e32 v29, v32, v33
	v_sub_f16_e32 v25, v24, v25
	v_fma_f16 v43, v47, 2.0, -v36
	v_fma_f16 v44, v57, 2.0, -v37
	v_sub_f16_e32 v37, v26, v37
	v_fma_f16 v47, v70, 2.0, -v39
	v_sub_f16_e32 v39, v28, v39
	v_sub_f16_e32 v22, v27, v22
	v_fma_f16 v23, v23, 2.0, -v31
	v_fma_f16 v49, v30, 2.0, -v42
	;; [unrolled: 1-line block ×7, first 2 shown]
	ds_write_b16 v34, v31 offset:144
	ds_write_b16 v34, v23 offset:48
	;; [unrolled: 1-line block ×3, first 2 shown]
	ds_write_b16 v34, v30
	ds_write_b16 v35, v24
	ds_write_b16 v35, v26 offset:48
	ds_write_b16 v35, v25 offset:96
	;; [unrolled: 1-line block ×3, first 2 shown]
	ds_write_b16 v2, v27
	ds_write_b16 v2, v28 offset:48
	ds_write_b16 v2, v22 offset:96
	;; [unrolled: 1-line block ×3, first 2 shown]
	s_waitcnt lgkmcnt(0)
	s_barrier
	buffer_gl0_inv
	ds_read_u16 v26, v18
	ds_read_u16 v31, v19 offset:192
	ds_read_u16 v23, v19 offset:256
	;; [unrolled: 1-line block ×8, first 2 shown]
	ds_read_u16 v25, v21
	ds_read_u16 v22, v20
	ds_read_u16 v30, v19 offset:704
	v_fma_f16 v46, v46, 2.0, -v38
	v_sub_f16_e32 v41, v40, v41
	v_sub_f16_e32 v44, v43, v44
	v_fma_f16 v36, v36, 2.0, -v45
	v_fma_f16 v37, v38, 2.0, -v48
	v_sub_f16_e32 v47, v46, v47
	v_fma_f16 v40, v40, 2.0, -v41
	v_fma_f16 v43, v43, 2.0, -v44
	s_waitcnt lgkmcnt(0)
	s_barrier
	v_fma_f16 v46, v46, 2.0, -v47
	buffer_gl0_inv
	ds_write_b16 v34, v40
	ds_write_b16 v34, v49 offset:48
	ds_write_b16 v34, v41 offset:96
	ds_write_b16 v34, v42 offset:144
	ds_write_b16 v35, v43
	ds_write_b16 v35, v36 offset:48
	ds_write_b16 v35, v44 offset:96
	ds_write_b16 v35, v45 offset:144
	;; [unrolled: 4-line block ×3, first 2 shown]
	s_waitcnt lgkmcnt(0)
	s_barrier
	buffer_gl0_inv
	s_and_saveexec_b32 s0, vcc_lo
	s_cbranch_execz .LBB0_15
; %bb.14:
	v_mul_i32_i24_e32 v2, 3, v16
	v_mul_u32_u24_e32 v34, 3, v6
	v_mad_u64_u32 v[43:44], null, s2, v4, 0
	v_mad_u64_u32 v[45:46], null, s2, v8, 0
	v_lshlrev_b64 v[37:38], 2, v[2:3]
	v_mul_i32_i24_e32 v2, 3, v17
	v_lshlrev_b32_e32 v16, 2, v34
	v_mad_u64_u32 v[47:48], null, s2, v13, 0
	v_mad_u64_u32 v[49:50], null, s2, v9, 0
	v_lshlrev_b64 v[2:3], 2, v[2:3]
	v_add_co_u32 v37, vcc_lo, s8, v37
	global_load_dwordx3 v[34:36], v16, s[8:9] offset:360
	v_add_co_ci_u32_e32 v38, vcc_lo, s9, v38, vcc_lo
	v_add_co_u32 v2, vcc_lo, s8, v2
	v_add_co_ci_u32_e32 v3, vcc_lo, s9, v3, vcc_lo
	global_load_dwordx3 v[37:39], v[37:38], off offset:360
	v_add_co_u32 v68, vcc_lo, s12, v0
	global_load_dwordx3 v[40:42], v[2:3], off offset:360
	ds_read_u16 v64, v21
	ds_read_u16 v65, v20
	ds_read_u16 v66, v19 offset:704
	ds_read_u16 v67, v19 offset:640
	v_mad_u64_u32 v[20:21], null, s2, v15, 0
	v_mad_u64_u32 v[2:3], null, s2, v6, 0
	v_add_co_ci_u32_e32 v69, vcc_lo, s13, v1, vcc_lo
	v_mad_u64_u32 v[0:1], null, s2, v14, 0
	v_mad_u64_u32 v[16:17], null, s2, v12, 0
	;; [unrolled: 1-line block ×3, first 2 shown]
	ds_read_u16 v70, v19 offset:576
	ds_read_u16 v71, v19 offset:512
	;; [unrolled: 1-line block ×7, first 2 shown]
	ds_read_u16 v77, v18
	v_mov_b32_e32 v18, v21
	v_mad_u64_u32 v[53:54], null, s2, v10, 0
	v_mov_b32_e32 v19, v44
	v_mov_b32_e32 v21, v46
	;; [unrolled: 1-line block ×4, first 2 shown]
	v_mad_u64_u32 v[59:60], null, s3, v6, v[3:4]
	v_mad_u64_u32 v[60:61], null, s3, v14, v[1:2]
	;; [unrolled: 1-line block ×4, first 2 shown]
	v_mov_b32_e32 v48, v52
	v_mad_u64_u32 v[61:62], null, s3, v12, v[17:18]
	v_mad_u64_u32 v[62:63], null, s3, v8, v[21:22]
	;; [unrolled: 1-line block ×4, first 2 shown]
	v_mov_b32_e32 v50, v54
	v_mad_u64_u32 v[14:15], null, s3, v15, v[18:19]
	v_mad_u64_u32 v[18:19], null, s3, v4, v[19:20]
	;; [unrolled: 1-line block ×3, first 2 shown]
	v_mov_b32_e32 v3, v56
	v_mov_b32_e32 v1, v58
	v_mad_u64_u32 v[5:6], null, s3, v10, v[50:51]
	v_mov_b32_e32 v46, v62
	v_mov_b32_e32 v48, v12
	;; [unrolled: 1-line block ×3, first 2 shown]
	v_mad_u64_u32 v[6:7], null, s3, v7, v[3:4]
	v_mad_u64_u32 v[9:10], null, s3, v11, v[1:2]
	v_mov_b32_e32 v3, v59
	v_mov_b32_e32 v21, v14
	v_lshlrev_b64 v[10:11], 2, v[45:46]
	v_lshlrev_b64 v[12:13], 2, v[47:48]
	v_lshlrev_b64 v[14:15], 2, v[49:50]
	v_mov_b32_e32 v1, v60
	v_lshlrev_b64 v[2:3], 2, v[2:3]
	v_mov_b32_e32 v17, v61
	v_mov_b32_e32 v52, v4
	;; [unrolled: 1-line block ×3, first 2 shown]
	v_lshlrev_b64 v[0:1], 2, v[0:1]
	v_mov_b32_e32 v44, v18
	v_lshlrev_b64 v[4:5], 2, v[16:17]
	v_add_co_u32 v2, vcc_lo, v68, v2
	v_add_co_ci_u32_e32 v3, vcc_lo, v69, v3, vcc_lo
	v_mov_b32_e32 v56, v6
	v_lshlrev_b64 v[6:7], 2, v[20:21]
	v_add_co_u32 v0, vcc_lo, v68, v0
	v_lshlrev_b64 v[16:17], 2, v[51:52]
	v_add_co_ci_u32_e32 v1, vcc_lo, v69, v1, vcc_lo
	v_mov_b32_e32 v58, v9
	v_lshlrev_b64 v[8:9], 2, v[43:44]
	v_add_co_u32 v4, vcc_lo, v68, v4
	v_add_co_ci_u32_e32 v5, vcc_lo, v69, v5, vcc_lo
	v_add_co_u32 v6, vcc_lo, v68, v6
	v_add_co_ci_u32_e32 v7, vcc_lo, v69, v7, vcc_lo
	;; [unrolled: 2-line block ×5, first 2 shown]
	v_lshlrev_b64 v[18:19], 2, v[53:54]
	v_add_co_u32 v14, vcc_lo, v68, v14
	v_add_co_ci_u32_e32 v15, vcc_lo, v69, v15, vcc_lo
	v_lshlrev_b64 v[20:21], 2, v[55:56]
	v_add_co_u32 v16, vcc_lo, v68, v16
	v_add_co_ci_u32_e32 v17, vcc_lo, v69, v17, vcc_lo
	;; [unrolled: 3-line block ×3, first 2 shown]
	v_add_co_u32 v20, vcc_lo, v68, v20
	v_add_co_ci_u32_e32 v21, vcc_lo, v69, v21, vcc_lo
	v_add_co_u32 v43, vcc_lo, v68, v43
	v_add_co_ci_u32_e32 v44, vcc_lo, v69, v44, vcc_lo
	s_waitcnt vmcnt(2) lgkmcnt(4)
	v_mul_f16_sdwa v45, v73, v35 dst_sel:DWORD dst_unused:UNUSED_PAD src0_sel:DWORD src1_sel:WORD_1
	v_mul_f16_sdwa v46, v31, v34 dst_sel:DWORD dst_unused:UNUSED_PAD src0_sel:DWORD src1_sel:WORD_1
	;; [unrolled: 1-line block ×4, first 2 shown]
	s_waitcnt lgkmcnt(1)
	v_mul_f16_sdwa v49, v76, v34 dst_sel:DWORD dst_unused:UNUSED_PAD src0_sel:DWORD src1_sel:WORD_1
	v_mul_f16_sdwa v50, v70, v36 dst_sel:DWORD dst_unused:UNUSED_PAD src0_sel:DWORD src1_sel:WORD_1
	v_fma_f16 v33, v33, v35, -v45
	v_fmac_f16_e32 v46, v76, v34
	v_fmac_f16_e32 v47, v70, v36
	;; [unrolled: 1-line block ×3, first 2 shown]
	v_fma_f16 v31, v31, v34, -v49
	v_fma_f16 v32, v32, v36, -v50
	s_waitcnt vmcnt(1)
	v_mul_f16_sdwa v34, v71, v38 dst_sel:DWORD dst_unused:UNUSED_PAD src0_sel:DWORD src1_sel:WORD_1
	v_mul_f16_sdwa v35, v28, v37 dst_sel:DWORD dst_unused:UNUSED_PAD src0_sel:DWORD src1_sel:WORD_1
	;; [unrolled: 1-line block ×6, first 2 shown]
	v_sub_f16_e32 v33, v26, v33
	v_sub_f16_e32 v47, v46, v47
	s_waitcnt lgkmcnt(0)
	v_sub_f16_e32 v48, v77, v48
	v_sub_f16_e32 v32, v31, v32
	v_fma_f16 v29, v29, v38, -v34
	v_fmac_f16_e32 v35, v74, v37
	v_fmac_f16_e32 v36, v66, v39
	;; [unrolled: 1-line block ×3, first 2 shown]
	v_fma_f16 v28, v28, v37, -v49
	v_fma_f16 v30, v30, v39, -v50
	s_waitcnt vmcnt(0)
	v_mul_f16_sdwa v34, v72, v41 dst_sel:DWORD dst_unused:UNUSED_PAD src0_sel:DWORD src1_sel:WORD_1
	v_mul_f16_sdwa v37, v23, v40 dst_sel:DWORD dst_unused:UNUSED_PAD src0_sel:DWORD src1_sel:WORD_1
	;; [unrolled: 1-line block ×6, first 2 shown]
	v_add_f16_e32 v52, v48, v32
	v_fma_f16 v26, v26, 2.0, -v33
	v_fma_f16 v31, v31, 2.0, -v32
	;; [unrolled: 1-line block ×4, first 2 shown]
	v_sub_f16_e32 v29, v25, v29
	v_sub_f16_e32 v36, v35, v36
	v_fma_f16 v27, v27, v41, -v34
	v_fmac_f16_e32 v37, v75, v40
	v_fmac_f16_e32 v38, v67, v42
	;; [unrolled: 1-line block ×3, first 2 shown]
	v_fma_f16 v23, v23, v40, -v49
	v_fma_f16 v24, v24, v42, -v50
	v_sub_f16_e32 v31, v26, v31
	v_sub_f16_e32 v40, v32, v46
	;; [unrolled: 1-line block ×3, first 2 shown]
	v_fma_f16 v35, v35, 2.0, -v36
	v_sub_f16_e32 v27, v22, v27
	v_sub_f16_e32 v36, v37, v38
	;; [unrolled: 1-line block ×6, first 2 shown]
	v_fma_f16 v26, v26, 2.0, -v31
	v_fma_f16 v32, v32, 2.0, -v40
	v_pack_b32_f16 v31, v31, v40
	v_sub_f16_e32 v39, v27, v36
	v_add_f16_e32 v40, v38, v24
	v_fma_f16 v22, v22, 2.0, -v27
	v_fma_f16 v23, v23, 2.0, -v24
	;; [unrolled: 1-line block ×4, first 2 shown]
	v_sub_f16_e32 v51, v33, v47
	v_add_f16_e32 v46, v45, v30
	v_fma_f16 v25, v25, 2.0, -v29
	v_fma_f16 v28, v28, 2.0, -v30
	v_fma_f16 v30, v64, 2.0, -v45
	v_pack_b32_f16 v26, v26, v32
	v_sub_f16_e32 v23, v22, v23
	v_sub_f16_e32 v32, v24, v36
	v_fma_f16 v33, v33, 2.0, -v51
	v_fma_f16 v34, v48, 2.0, -v52
	v_sub_f16_e32 v28, v25, v28
	v_sub_f16_e32 v35, v30, v35
	v_fma_f16 v22, v22, 2.0, -v23
	v_fma_f16 v24, v24, 2.0, -v32
	v_pack_b32_f16 v33, v33, v34
	v_fma_f16 v27, v27, 2.0, -v39
	v_fma_f16 v36, v38, 2.0, -v40
	;; [unrolled: 1-line block ×4, first 2 shown]
	v_pack_b32_f16 v41, v51, v52
	v_fma_f16 v29, v29, 2.0, -v42
	v_fma_f16 v34, v45, 2.0, -v46
	global_store_dword v[2:3], v26, off
	global_store_dword v[0:1], v33, off
	;; [unrolled: 1-line block ×3, first 2 shown]
	v_pack_b32_f16 v0, v22, v24
	v_pack_b32_f16 v1, v27, v36
	;; [unrolled: 1-line block ×8, first 2 shown]
	global_store_dword v[6:7], v41, off
	global_store_dword v[8:9], v0, off
	;; [unrolled: 1-line block ×9, first 2 shown]
.LBB0_15:
	s_endpgm
	.section	.rodata,"a",@progbits
	.p2align	6, 0x0
	.amdhsa_kernel fft_rtc_fwd_len384_factors_6_4_4_4_wgs_128_tpt_32_halfLds_half_ip_CI_sbrr_dirReg
		.amdhsa_group_segment_fixed_size 0
		.amdhsa_private_segment_fixed_size 0
		.amdhsa_kernarg_size 88
		.amdhsa_user_sgpr_count 6
		.amdhsa_user_sgpr_private_segment_buffer 1
		.amdhsa_user_sgpr_dispatch_ptr 0
		.amdhsa_user_sgpr_queue_ptr 0
		.amdhsa_user_sgpr_kernarg_segment_ptr 1
		.amdhsa_user_sgpr_dispatch_id 0
		.amdhsa_user_sgpr_flat_scratch_init 0
		.amdhsa_user_sgpr_private_segment_size 0
		.amdhsa_wavefront_size32 1
		.amdhsa_uses_dynamic_stack 0
		.amdhsa_system_sgpr_private_segment_wavefront_offset 0
		.amdhsa_system_sgpr_workgroup_id_x 1
		.amdhsa_system_sgpr_workgroup_id_y 0
		.amdhsa_system_sgpr_workgroup_id_z 0
		.amdhsa_system_sgpr_workgroup_info 0
		.amdhsa_system_vgpr_workitem_id 0
		.amdhsa_next_free_vgpr 85
		.amdhsa_next_free_sgpr 23
		.amdhsa_reserve_vcc 1
		.amdhsa_reserve_flat_scratch 0
		.amdhsa_float_round_mode_32 0
		.amdhsa_float_round_mode_16_64 0
		.amdhsa_float_denorm_mode_32 3
		.amdhsa_float_denorm_mode_16_64 3
		.amdhsa_dx10_clamp 1
		.amdhsa_ieee_mode 1
		.amdhsa_fp16_overflow 0
		.amdhsa_workgroup_processor_mode 1
		.amdhsa_memory_ordered 1
		.amdhsa_forward_progress 0
		.amdhsa_shared_vgpr_count 0
		.amdhsa_exception_fp_ieee_invalid_op 0
		.amdhsa_exception_fp_denorm_src 0
		.amdhsa_exception_fp_ieee_div_zero 0
		.amdhsa_exception_fp_ieee_overflow 0
		.amdhsa_exception_fp_ieee_underflow 0
		.amdhsa_exception_fp_ieee_inexact 0
		.amdhsa_exception_int_div_zero 0
	.end_amdhsa_kernel
	.text
.Lfunc_end0:
	.size	fft_rtc_fwd_len384_factors_6_4_4_4_wgs_128_tpt_32_halfLds_half_ip_CI_sbrr_dirReg, .Lfunc_end0-fft_rtc_fwd_len384_factors_6_4_4_4_wgs_128_tpt_32_halfLds_half_ip_CI_sbrr_dirReg
                                        ; -- End function
	.section	.AMDGPU.csdata,"",@progbits
; Kernel info:
; codeLenInByte = 6832
; NumSgprs: 25
; NumVgprs: 85
; ScratchSize: 0
; MemoryBound: 0
; FloatMode: 240
; IeeeMode: 1
; LDSByteSize: 0 bytes/workgroup (compile time only)
; SGPRBlocks: 3
; VGPRBlocks: 10
; NumSGPRsForWavesPerEU: 25
; NumVGPRsForWavesPerEU: 85
; Occupancy: 10
; WaveLimiterHint : 1
; COMPUTE_PGM_RSRC2:SCRATCH_EN: 0
; COMPUTE_PGM_RSRC2:USER_SGPR: 6
; COMPUTE_PGM_RSRC2:TRAP_HANDLER: 0
; COMPUTE_PGM_RSRC2:TGID_X_EN: 1
; COMPUTE_PGM_RSRC2:TGID_Y_EN: 0
; COMPUTE_PGM_RSRC2:TGID_Z_EN: 0
; COMPUTE_PGM_RSRC2:TIDIG_COMP_CNT: 0
	.text
	.p2alignl 6, 3214868480
	.fill 48, 4, 3214868480
	.type	__hip_cuid_4e5cb00471c53141,@object ; @__hip_cuid_4e5cb00471c53141
	.section	.bss,"aw",@nobits
	.globl	__hip_cuid_4e5cb00471c53141
__hip_cuid_4e5cb00471c53141:
	.byte	0                               ; 0x0
	.size	__hip_cuid_4e5cb00471c53141, 1

	.ident	"AMD clang version 19.0.0git (https://github.com/RadeonOpenCompute/llvm-project roc-6.4.0 25133 c7fe45cf4b819c5991fe208aaa96edf142730f1d)"
	.section	".note.GNU-stack","",@progbits
	.addrsig
	.addrsig_sym __hip_cuid_4e5cb00471c53141
	.amdgpu_metadata
---
amdhsa.kernels:
  - .args:
      - .actual_access:  read_only
        .address_space:  global
        .offset:         0
        .size:           8
        .value_kind:     global_buffer
      - .offset:         8
        .size:           8
        .value_kind:     by_value
      - .actual_access:  read_only
        .address_space:  global
        .offset:         16
        .size:           8
        .value_kind:     global_buffer
      - .actual_access:  read_only
        .address_space:  global
        .offset:         24
        .size:           8
        .value_kind:     global_buffer
      - .offset:         32
        .size:           8
        .value_kind:     by_value
      - .actual_access:  read_only
        .address_space:  global
        .offset:         40
        .size:           8
        .value_kind:     global_buffer
      - .actual_access:  read_only
        .address_space:  global
        .offset:         48
        .size:           8
        .value_kind:     global_buffer
      - .offset:         56
        .size:           4
        .value_kind:     by_value
      - .actual_access:  read_only
        .address_space:  global
        .offset:         64
        .size:           8
        .value_kind:     global_buffer
      - .actual_access:  read_only
        .address_space:  global
        .offset:         72
        .size:           8
        .value_kind:     global_buffer
      - .address_space:  global
        .offset:         80
        .size:           8
        .value_kind:     global_buffer
    .group_segment_fixed_size: 0
    .kernarg_segment_align: 8
    .kernarg_segment_size: 88
    .language:       OpenCL C
    .language_version:
      - 2
      - 0
    .max_flat_workgroup_size: 128
    .name:           fft_rtc_fwd_len384_factors_6_4_4_4_wgs_128_tpt_32_halfLds_half_ip_CI_sbrr_dirReg
    .private_segment_fixed_size: 0
    .sgpr_count:     25
    .sgpr_spill_count: 0
    .symbol:         fft_rtc_fwd_len384_factors_6_4_4_4_wgs_128_tpt_32_halfLds_half_ip_CI_sbrr_dirReg.kd
    .uniform_work_group_size: 1
    .uses_dynamic_stack: false
    .vgpr_count:     85
    .vgpr_spill_count: 0
    .wavefront_size: 32
    .workgroup_processor_mode: 1
amdhsa.target:   amdgcn-amd-amdhsa--gfx1030
amdhsa.version:
  - 1
  - 2
...

	.end_amdgpu_metadata
